;; amdgpu-corpus repo=ROCm/rocFFT kind=compiled arch=gfx1201 opt=O3
	.text
	.amdgcn_target "amdgcn-amd-amdhsa--gfx1201"
	.amdhsa_code_object_version 6
	.protected	fft_rtc_fwd_len896_factors_2_2_2_2_2_2_2_7_wgs_112_tpt_112_sp_ip_CI_unitstride_sbrr_dirReg ; -- Begin function fft_rtc_fwd_len896_factors_2_2_2_2_2_2_2_7_wgs_112_tpt_112_sp_ip_CI_unitstride_sbrr_dirReg
	.globl	fft_rtc_fwd_len896_factors_2_2_2_2_2_2_2_7_wgs_112_tpt_112_sp_ip_CI_unitstride_sbrr_dirReg
	.p2align	8
	.type	fft_rtc_fwd_len896_factors_2_2_2_2_2_2_2_7_wgs_112_tpt_112_sp_ip_CI_unitstride_sbrr_dirReg,@function
fft_rtc_fwd_len896_factors_2_2_2_2_2_2_2_7_wgs_112_tpt_112_sp_ip_CI_unitstride_sbrr_dirReg: ; @fft_rtc_fwd_len896_factors_2_2_2_2_2_2_2_7_wgs_112_tpt_112_sp_ip_CI_unitstride_sbrr_dirReg
; %bb.0:
	s_clause 0x2
	s_load_b128 s[4:7], s[0:1], 0x0
	s_load_b64 s[8:9], s[0:1], 0x50
	s_load_b64 s[10:11], s[0:1], 0x18
	v_mul_u32_u24_e32 v1, 0x24a, v0
	v_mov_b32_e32 v3, 0
	s_delay_alu instid0(VALU_DEP_2) | instskip(NEXT) | instid1(VALU_DEP_1)
	v_lshrrev_b32_e32 v1, 16, v1
	v_add_nc_u32_e32 v5, ttmp9, v1
	v_mov_b32_e32 v1, 0
	v_mov_b32_e32 v2, 0
	;; [unrolled: 1-line block ×3, first 2 shown]
	s_wait_kmcnt 0x0
	v_cmp_lt_u64_e64 s2, s[6:7], 2
	s_delay_alu instid0(VALU_DEP_1)
	s_and_b32 vcc_lo, exec_lo, s2
	s_cbranch_vccnz .LBB0_8
; %bb.1:
	s_load_b64 s[2:3], s[0:1], 0x10
	v_mov_b32_e32 v1, 0
	v_mov_b32_e32 v2, 0
	s_add_nc_u64 s[12:13], s[10:11], 8
	s_mov_b64 s[14:15], 1
	s_wait_kmcnt 0x0
	s_add_nc_u64 s[16:17], s[2:3], 8
	s_mov_b32 s3, 0
.LBB0_2:                                ; =>This Inner Loop Header: Depth=1
	s_load_b64 s[18:19], s[16:17], 0x0
                                        ; implicit-def: $vgpr7_vgpr8
	s_mov_b32 s2, exec_lo
	s_wait_kmcnt 0x0
	v_or_b32_e32 v4, s19, v6
	s_delay_alu instid0(VALU_DEP_1)
	v_cmpx_ne_u64_e32 0, v[3:4]
	s_wait_alu 0xfffe
	s_xor_b32 s20, exec_lo, s2
	s_cbranch_execz .LBB0_4
; %bb.3:                                ;   in Loop: Header=BB0_2 Depth=1
	s_cvt_f32_u32 s2, s18
	s_cvt_f32_u32 s21, s19
	s_sub_nc_u64 s[24:25], 0, s[18:19]
	s_wait_alu 0xfffe
	s_delay_alu instid0(SALU_CYCLE_1) | instskip(SKIP_1) | instid1(SALU_CYCLE_2)
	s_fmamk_f32 s2, s21, 0x4f800000, s2
	s_wait_alu 0xfffe
	v_s_rcp_f32 s2, s2
	s_delay_alu instid0(TRANS32_DEP_1) | instskip(SKIP_1) | instid1(SALU_CYCLE_2)
	s_mul_f32 s2, s2, 0x5f7ffffc
	s_wait_alu 0xfffe
	s_mul_f32 s21, s2, 0x2f800000
	s_wait_alu 0xfffe
	s_delay_alu instid0(SALU_CYCLE_2) | instskip(SKIP_1) | instid1(SALU_CYCLE_2)
	s_trunc_f32 s21, s21
	s_wait_alu 0xfffe
	s_fmamk_f32 s2, s21, 0xcf800000, s2
	s_cvt_u32_f32 s23, s21
	s_wait_alu 0xfffe
	s_delay_alu instid0(SALU_CYCLE_1) | instskip(SKIP_1) | instid1(SALU_CYCLE_2)
	s_cvt_u32_f32 s22, s2
	s_wait_alu 0xfffe
	s_mul_u64 s[26:27], s[24:25], s[22:23]
	s_wait_alu 0xfffe
	s_mul_hi_u32 s29, s22, s27
	s_mul_i32 s28, s22, s27
	s_mul_hi_u32 s2, s22, s26
	s_mul_i32 s30, s23, s26
	s_wait_alu 0xfffe
	s_add_nc_u64 s[28:29], s[2:3], s[28:29]
	s_mul_hi_u32 s21, s23, s26
	s_mul_hi_u32 s31, s23, s27
	s_add_co_u32 s2, s28, s30
	s_wait_alu 0xfffe
	s_add_co_ci_u32 s2, s29, s21
	s_mul_i32 s26, s23, s27
	s_add_co_ci_u32 s27, s31, 0
	s_wait_alu 0xfffe
	s_add_nc_u64 s[26:27], s[2:3], s[26:27]
	s_wait_alu 0xfffe
	v_add_co_u32 v4, s2, s22, s26
	s_delay_alu instid0(VALU_DEP_1) | instskip(SKIP_1) | instid1(VALU_DEP_1)
	s_cmp_lg_u32 s2, 0
	s_add_co_ci_u32 s23, s23, s27
	v_readfirstlane_b32 s22, v4
	s_wait_alu 0xfffe
	s_delay_alu instid0(VALU_DEP_1)
	s_mul_u64 s[24:25], s[24:25], s[22:23]
	s_wait_alu 0xfffe
	s_mul_hi_u32 s27, s22, s25
	s_mul_i32 s26, s22, s25
	s_mul_hi_u32 s2, s22, s24
	s_mul_i32 s28, s23, s24
	s_wait_alu 0xfffe
	s_add_nc_u64 s[26:27], s[2:3], s[26:27]
	s_mul_hi_u32 s21, s23, s24
	s_mul_hi_u32 s22, s23, s25
	s_wait_alu 0xfffe
	s_add_co_u32 s2, s26, s28
	s_add_co_ci_u32 s2, s27, s21
	s_mul_i32 s24, s23, s25
	s_add_co_ci_u32 s25, s22, 0
	s_wait_alu 0xfffe
	s_add_nc_u64 s[24:25], s[2:3], s[24:25]
	s_wait_alu 0xfffe
	v_add_co_u32 v4, s2, v4, s24
	s_delay_alu instid0(VALU_DEP_1) | instskip(SKIP_1) | instid1(VALU_DEP_1)
	s_cmp_lg_u32 s2, 0
	s_add_co_ci_u32 s2, s23, s25
	v_mul_hi_u32 v13, v5, v4
	s_wait_alu 0xfffe
	v_mad_co_u64_u32 v[7:8], null, v5, s2, 0
	v_mad_co_u64_u32 v[9:10], null, v6, v4, 0
	;; [unrolled: 1-line block ×3, first 2 shown]
	s_delay_alu instid0(VALU_DEP_3) | instskip(SKIP_1) | instid1(VALU_DEP_4)
	v_add_co_u32 v4, vcc_lo, v13, v7
	s_wait_alu 0xfffd
	v_add_co_ci_u32_e32 v7, vcc_lo, 0, v8, vcc_lo
	s_delay_alu instid0(VALU_DEP_2) | instskip(SKIP_1) | instid1(VALU_DEP_2)
	v_add_co_u32 v4, vcc_lo, v4, v9
	s_wait_alu 0xfffd
	v_add_co_ci_u32_e32 v4, vcc_lo, v7, v10, vcc_lo
	s_wait_alu 0xfffd
	v_add_co_ci_u32_e32 v7, vcc_lo, 0, v12, vcc_lo
	s_delay_alu instid0(VALU_DEP_2) | instskip(SKIP_1) | instid1(VALU_DEP_2)
	v_add_co_u32 v4, vcc_lo, v4, v11
	s_wait_alu 0xfffd
	v_add_co_ci_u32_e32 v9, vcc_lo, 0, v7, vcc_lo
	s_delay_alu instid0(VALU_DEP_2) | instskip(SKIP_1) | instid1(VALU_DEP_3)
	v_mul_lo_u32 v10, s19, v4
	v_mad_co_u64_u32 v[7:8], null, s18, v4, 0
	v_mul_lo_u32 v11, s18, v9
	s_delay_alu instid0(VALU_DEP_2) | instskip(NEXT) | instid1(VALU_DEP_2)
	v_sub_co_u32 v7, vcc_lo, v5, v7
	v_add3_u32 v8, v8, v11, v10
	s_delay_alu instid0(VALU_DEP_1) | instskip(SKIP_1) | instid1(VALU_DEP_1)
	v_sub_nc_u32_e32 v10, v6, v8
	s_wait_alu 0xfffd
	v_subrev_co_ci_u32_e64 v10, s2, s19, v10, vcc_lo
	v_add_co_u32 v11, s2, v4, 2
	s_wait_alu 0xf1ff
	v_add_co_ci_u32_e64 v12, s2, 0, v9, s2
	v_sub_co_u32 v13, s2, v7, s18
	v_sub_co_ci_u32_e32 v8, vcc_lo, v6, v8, vcc_lo
	s_wait_alu 0xf1ff
	v_subrev_co_ci_u32_e64 v10, s2, 0, v10, s2
	s_delay_alu instid0(VALU_DEP_3) | instskip(NEXT) | instid1(VALU_DEP_3)
	v_cmp_le_u32_e32 vcc_lo, s18, v13
	v_cmp_eq_u32_e64 s2, s19, v8
	s_wait_alu 0xfffd
	v_cndmask_b32_e64 v13, 0, -1, vcc_lo
	v_cmp_le_u32_e32 vcc_lo, s19, v10
	s_wait_alu 0xfffd
	v_cndmask_b32_e64 v14, 0, -1, vcc_lo
	v_cmp_le_u32_e32 vcc_lo, s18, v7
	;; [unrolled: 3-line block ×3, first 2 shown]
	s_wait_alu 0xfffd
	v_cndmask_b32_e64 v15, 0, -1, vcc_lo
	v_cmp_eq_u32_e32 vcc_lo, s19, v10
	s_wait_alu 0xf1ff
	s_delay_alu instid0(VALU_DEP_2)
	v_cndmask_b32_e64 v7, v15, v7, s2
	s_wait_alu 0xfffd
	v_cndmask_b32_e32 v10, v14, v13, vcc_lo
	v_add_co_u32 v13, vcc_lo, v4, 1
	s_wait_alu 0xfffd
	v_add_co_ci_u32_e32 v14, vcc_lo, 0, v9, vcc_lo
	s_delay_alu instid0(VALU_DEP_3) | instskip(SKIP_2) | instid1(VALU_DEP_3)
	v_cmp_ne_u32_e32 vcc_lo, 0, v10
	s_wait_alu 0xfffd
	v_cndmask_b32_e32 v10, v13, v11, vcc_lo
	v_cndmask_b32_e32 v8, v14, v12, vcc_lo
	v_cmp_ne_u32_e32 vcc_lo, 0, v7
	s_wait_alu 0xfffd
	s_delay_alu instid0(VALU_DEP_2)
	v_dual_cndmask_b32 v7, v4, v10 :: v_dual_cndmask_b32 v8, v9, v8
.LBB0_4:                                ;   in Loop: Header=BB0_2 Depth=1
	s_wait_alu 0xfffe
	s_and_not1_saveexec_b32 s2, s20
	s_cbranch_execz .LBB0_6
; %bb.5:                                ;   in Loop: Header=BB0_2 Depth=1
	v_cvt_f32_u32_e32 v4, s18
	s_sub_co_i32 s20, 0, s18
	s_delay_alu instid0(VALU_DEP_1) | instskip(NEXT) | instid1(TRANS32_DEP_1)
	v_rcp_iflag_f32_e32 v4, v4
	v_mul_f32_e32 v4, 0x4f7ffffe, v4
	s_delay_alu instid0(VALU_DEP_1) | instskip(SKIP_1) | instid1(VALU_DEP_1)
	v_cvt_u32_f32_e32 v4, v4
	s_wait_alu 0xfffe
	v_mul_lo_u32 v7, s20, v4
	s_delay_alu instid0(VALU_DEP_1) | instskip(NEXT) | instid1(VALU_DEP_1)
	v_mul_hi_u32 v7, v4, v7
	v_add_nc_u32_e32 v4, v4, v7
	s_delay_alu instid0(VALU_DEP_1) | instskip(NEXT) | instid1(VALU_DEP_1)
	v_mul_hi_u32 v4, v5, v4
	v_mul_lo_u32 v7, v4, s18
	v_add_nc_u32_e32 v8, 1, v4
	s_delay_alu instid0(VALU_DEP_2) | instskip(NEXT) | instid1(VALU_DEP_1)
	v_sub_nc_u32_e32 v7, v5, v7
	v_subrev_nc_u32_e32 v9, s18, v7
	v_cmp_le_u32_e32 vcc_lo, s18, v7
	s_wait_alu 0xfffd
	s_delay_alu instid0(VALU_DEP_2) | instskip(NEXT) | instid1(VALU_DEP_1)
	v_dual_cndmask_b32 v7, v7, v9 :: v_dual_cndmask_b32 v4, v4, v8
	v_cmp_le_u32_e32 vcc_lo, s18, v7
	s_delay_alu instid0(VALU_DEP_2) | instskip(SKIP_1) | instid1(VALU_DEP_1)
	v_add_nc_u32_e32 v8, 1, v4
	s_wait_alu 0xfffd
	v_dual_cndmask_b32 v7, v4, v8 :: v_dual_mov_b32 v8, v3
.LBB0_6:                                ;   in Loop: Header=BB0_2 Depth=1
	s_wait_alu 0xfffe
	s_or_b32 exec_lo, exec_lo, s2
	s_load_b64 s[20:21], s[12:13], 0x0
	s_delay_alu instid0(VALU_DEP_1)
	v_mul_lo_u32 v4, v8, s18
	v_mul_lo_u32 v11, v7, s19
	v_mad_co_u64_u32 v[9:10], null, v7, s18, 0
	s_add_nc_u64 s[14:15], s[14:15], 1
	s_add_nc_u64 s[12:13], s[12:13], 8
	s_wait_alu 0xfffe
	v_cmp_ge_u64_e64 s2, s[14:15], s[6:7]
	s_add_nc_u64 s[16:17], s[16:17], 8
	s_delay_alu instid0(VALU_DEP_2) | instskip(NEXT) | instid1(VALU_DEP_3)
	v_add3_u32 v4, v10, v11, v4
	v_sub_co_u32 v5, vcc_lo, v5, v9
	s_wait_alu 0xfffd
	s_delay_alu instid0(VALU_DEP_2) | instskip(SKIP_3) | instid1(VALU_DEP_2)
	v_sub_co_ci_u32_e32 v4, vcc_lo, v6, v4, vcc_lo
	s_and_b32 vcc_lo, exec_lo, s2
	s_wait_kmcnt 0x0
	v_mul_lo_u32 v6, s21, v5
	v_mul_lo_u32 v4, s20, v4
	v_mad_co_u64_u32 v[1:2], null, s20, v5, v[1:2]
	s_delay_alu instid0(VALU_DEP_1)
	v_add3_u32 v2, v6, v2, v4
	s_wait_alu 0xfffe
	s_cbranch_vccnz .LBB0_9
; %bb.7:                                ;   in Loop: Header=BB0_2 Depth=1
	v_dual_mov_b32 v5, v7 :: v_dual_mov_b32 v6, v8
	s_branch .LBB0_2
.LBB0_8:
	v_dual_mov_b32 v8, v6 :: v_dual_mov_b32 v7, v5
.LBB0_9:
	s_lshl_b64 s[2:3], s[6:7], 3
	v_mul_hi_u32 v3, 0x2492493, v0
	s_wait_alu 0xfffe
	s_add_nc_u64 s[2:3], s[10:11], s[2:3]
	s_load_b64 s[0:1], s[0:1], 0x20
	s_load_b64 s[2:3], s[2:3], 0x0
	s_delay_alu instid0(VALU_DEP_1) | instskip(NEXT) | instid1(VALU_DEP_1)
	v_mul_u32_u24_e32 v3, 0x70, v3
	v_sub_nc_u32_e32 v24, v0, v3
	s_delay_alu instid0(VALU_DEP_1)
	v_add_nc_u32_e32 v33, 0x70, v24
	v_add_nc_u32_e32 v3, 0xe0, v24
	s_wait_kmcnt 0x0
	v_cmp_gt_u64_e32 vcc_lo, s[0:1], v[7:8]
	v_mul_lo_u32 v4, s2, v8
	v_mul_lo_u32 v5, s3, v7
	v_mad_co_u64_u32 v[0:1], null, s2, v7, v[1:2]
	v_cmp_le_u64_e64 s0, s[0:1], v[7:8]
	v_add_nc_u32_e32 v2, 0x150, v24
	s_delay_alu instid0(VALU_DEP_3) | instskip(NEXT) | instid1(VALU_DEP_3)
	v_add3_u32 v1, v5, v1, v4
	s_and_saveexec_b32 s1, s0
	s_wait_alu 0xfffe
	s_xor_b32 s0, exec_lo, s1
; %bb.10:
	v_add_nc_u32_e32 v33, 0x70, v24
	v_add_nc_u32_e32 v3, 0xe0, v24
	;; [unrolled: 1-line block ×3, first 2 shown]
; %bb.11:
	s_wait_alu 0xfffe
	s_or_saveexec_b32 s1, s0
	v_lshlrev_b64_e32 v[26:27], 3, v[0:1]
	s_wait_alu 0xfffe
	s_xor_b32 exec_lo, exec_lo, s1
	s_cbranch_execz .LBB0_13
; %bb.12:
	v_lshl_add_u32 v18, v24, 3, 0
	v_mov_b32_e32 v25, 0
	v_add_co_u32 v4, s0, s8, v26
	s_wait_alu 0xf1ff
	v_add_co_ci_u32_e64 v5, s0, s9, v27, s0
	v_add_nc_u32_e32 v20, 0xc00, v18
	v_lshlrev_b64_e32 v[0:1], 3, v[24:25]
	v_add_nc_u32_e32 v19, 0x400, v18
	v_add_nc_u32_e32 v21, 0x1400, v18
	s_delay_alu instid0(VALU_DEP_3) | instskip(SKIP_1) | instid1(VALU_DEP_4)
	v_add_co_u32 v0, s0, v4, v0
	s_wait_alu 0xf1ff
	v_add_co_ci_u32_e64 v1, s0, v5, v1, s0
	s_clause 0x7
	global_load_b64 v[4:5], v[0:1], off
	global_load_b64 v[6:7], v[0:1], off offset:896
	global_load_b64 v[8:9], v[0:1], off offset:1792
	;; [unrolled: 1-line block ×7, first 2 shown]
	s_wait_loadcnt 0x6
	ds_store_2addr_b64 v18, v[4:5], v[6:7] offset1:112
	s_wait_loadcnt 0x4
	ds_store_2addr_b64 v19, v[8:9], v[10:11] offset0:96 offset1:208
	s_wait_loadcnt 0x2
	ds_store_2addr_b64 v20, v[12:13], v[14:15] offset0:64 offset1:176
	;; [unrolled: 2-line block ×3, first 2 shown]
.LBB0_13:
	s_or_b32 exec_lo, exec_lo, s1
	v_lshlrev_b32_e32 v1, 3, v24
	global_wb scope:SCOPE_SE
	s_wait_dscnt 0x0
	s_barrier_signal -1
	s_barrier_wait -1
	global_inv scope:SCOPE_SE
	v_add_nc_u32_e32 v32, 0, v1
	v_lshl_add_u32 v22, v3, 4, 0
	v_lshl_add_u32 v23, v2, 4, 0
	v_cmp_gt_u32_e64 s0, 16, v24
	ds_load_2addr_b64 v[4:7], v32 offset1:112
	v_add_nc_u32_e32 v0, 0xc00, v32
	v_add_nc_u32_e32 v12, 0x400, v32
	;; [unrolled: 1-line block ×3, first 2 shown]
	ds_load_2addr_b64 v[8:11], v0 offset0:64 offset1:176
	ds_load_2addr_b64 v[12:15], v12 offset0:96 offset1:208
	;; [unrolled: 1-line block ×3, first 2 shown]
	v_and_b32_e32 v25, 1, v24
	v_lshl_add_u32 v0, v33, 4, 0
	global_wb scope:SCOPE_SE
	s_wait_dscnt 0x0
	s_barrier_signal -1
	s_barrier_wait -1
	global_inv scope:SCOPE_SE
	v_dual_sub_f32 v8, v4, v8 :: v_dual_sub_f32 v9, v5, v9
	v_dual_sub_f32 v10, v6, v10 :: v_dual_sub_f32 v11, v7, v11
	;; [unrolled: 1-line block ×4, first 2 shown]
	v_add_nc_u32_e32 v1, v32, v1
	v_fma_f32 v4, v4, 2.0, -v8
	v_fma_f32 v5, v5, 2.0, -v9
	v_fma_f32 v6, v6, 2.0, -v10
	v_fma_f32 v7, v7, 2.0, -v11
	v_fma_f32 v12, v12, 2.0, -v16
	v_fma_f32 v13, v13, 2.0, -v17
	v_fma_f32 v14, v14, 2.0, -v18
	v_fma_f32 v15, v15, 2.0, -v19
	ds_store_2addr_b64 v1, v[4:5], v[8:9] offset1:1
	ds_store_2addr_b64 v0, v[6:7], v[10:11] offset1:1
	;; [unrolled: 1-line block ×4, first 2 shown]
	global_wb scope:SCOPE_SE
	s_wait_dscnt 0x0
	s_barrier_signal -1
	s_barrier_wait -1
	global_inv scope:SCOPE_SE
	ds_load_2addr_stride64_b64 v[12:15], v32 offset1:7
	v_lshlrev_b32_e32 v20, 3, v25
	v_lshlrev_b32_e32 v1, 3, v33
	v_lshlrev_b32_e32 v7, 1, v33
	global_load_b64 v[20:21], v20, s[4:5]
	v_lshlrev_b32_e32 v5, 3, v3
	v_lshlrev_b32_e32 v10, 3, v2
	v_add_nc_u32_e32 v11, 0x1000, v32
	v_sub_nc_u32_e32 v4, v0, v1
	v_and_or_b32 v38, 0x1fc, v7, v25
	v_sub_nc_u32_e32 v9, v22, v5
	v_sub_nc_u32_e32 v10, v23, v10
	ds_load_2addr_b64 v[16:19], v11 offset0:48 offset1:160
	ds_load_b64 v[22:23], v9
	ds_load_b64 v[28:29], v10
	;; [unrolled: 1-line block ×3, first 2 shown]
	ds_load_b64 v[34:35], v32 offset:6272
	v_and_b32_e32 v36, 3, v24
	v_lshlrev_b32_e32 v8, 1, v24
	v_lshl_add_u32 v38, v38, 3, 0
	global_wb scope:SCOPE_SE
	s_wait_loadcnt_dscnt 0x0
	s_barrier_signal -1
	s_barrier_wait -1
	global_inv scope:SCOPE_SE
	v_mul_f32_e32 v43, v21, v17
	v_mul_f32_e32 v42, v21, v14
	;; [unrolled: 1-line block ×3, first 2 shown]
	v_dual_mul_f32 v44, v21, v16 :: v_dual_lshlrev_b32 v5, 1, v2
	v_mul_f32_e32 v45, v21, v19
	s_delay_alu instid0(VALU_DEP_4)
	v_fmac_f32_e32 v42, v20, v15
	v_mul_f32_e32 v46, v21, v18
	v_dual_mul_f32 v47, v21, v35 :: v_dual_lshlrev_b32 v40, 3, v36
	v_mul_f32_e32 v35, v20, v35
	v_fma_f32 v14, v20, v14, -v41
	v_fma_f32 v16, v20, v16, -v43
	v_dual_fmac_f32 v44, v20, v17 :: v_dual_sub_f32 v15, v13, v42
	s_delay_alu instid0(VALU_DEP_4) | instskip(SKIP_1) | instid1(VALU_DEP_3)
	v_dual_fmac_f32 v35, v21, v34 :: v_dual_lshlrev_b32 v6, 1, v3
	v_fma_f32 v18, v20, v18, -v45
	v_dual_fmac_f32 v46, v20, v19 :: v_dual_sub_f32 v17, v31, v44
	v_fma_f32 v20, v20, v34, -v47
	v_and_or_b32 v37, 0xfc, v8, v25
	v_dual_sub_f32 v14, v12, v14 :: v_dual_sub_f32 v21, v29, v35
	s_delay_alu instid0(VALU_DEP_4)
	v_dual_sub_f32 v16, v30, v16 :: v_dual_sub_f32 v19, v23, v46
	v_and_or_b32 v39, 0x3fc, v6, v25
	v_sub_f32_e32 v18, v22, v18
	v_and_or_b32 v25, 0x3fc, v5, v25
	v_sub_f32_e32 v20, v28, v20
	v_lshl_add_u32 v37, v37, 3, 0
	v_fma_f32 v12, v12, 2.0, -v14
	v_fma_f32 v13, v13, 2.0, -v15
	;; [unrolled: 1-line block ×4, first 2 shown]
	v_lshl_add_u32 v39, v39, 3, 0
	v_fma_f32 v22, v22, 2.0, -v18
	v_fma_f32 v23, v23, 2.0, -v19
	v_lshl_add_u32 v25, v25, 3, 0
	v_fma_f32 v28, v28, 2.0, -v20
	v_fma_f32 v29, v29, 2.0, -v21
	ds_store_2addr_b64 v37, v[12:13], v[14:15] offset1:2
	ds_store_2addr_b64 v38, v[30:31], v[16:17] offset1:2
	;; [unrolled: 1-line block ×4, first 2 shown]
	global_wb scope:SCOPE_SE
	s_wait_dscnt 0x0
	s_barrier_signal -1
	s_barrier_wait -1
	global_inv scope:SCOPE_SE
	global_load_b64 v[20:21], v40, s[4:5] offset:16
	ds_load_2addr_stride64_b64 v[12:15], v32 offset1:7
	ds_load_2addr_b64 v[16:19], v11 offset0:48 offset1:160
	ds_load_b32 v37, v4 offset:4
	ds_load_b64 v[22:23], v9
	ds_load_b64 v[28:29], v4
	ds_load_b64 v[30:31], v32 offset:6272
	v_and_or_b32 v34, 0xf8, v8, v36
	v_and_or_b32 v35, 0x1f8, v7, v36
	v_and_b32_e32 v25, 7, v24
	v_and_or_b32 v38, 0x3f8, v6, v36
	v_and_or_b32 v36, 0x3f8, v5, v36
	v_lshl_add_u32 v40, v34, 3, 0
	v_lshl_add_u32 v41, v35, 3, 0
	v_lshlrev_b32_e32 v39, 3, v25
	ds_load_b64 v[34:35], v10
	v_lshl_add_u32 v38, v38, 3, 0
	v_lshl_add_u32 v36, v36, 3, 0
	global_wb scope:SCOPE_SE
	s_wait_loadcnt_dscnt 0x0
	s_barrier_signal -1
	s_barrier_wait -1
	global_inv scope:SCOPE_SE
	v_mul_f32_e32 v44, v21, v17
	v_mul_f32_e32 v45, v21, v16
	;; [unrolled: 1-line block ×6, first 2 shown]
	v_fma_f32 v16, v20, v16, -v44
	v_mul_f32_e32 v43, v21, v14
	v_mul_f32_e32 v47, v21, v18
	v_fmac_f32_e32 v45, v20, v17
	v_fma_f32 v14, v20, v14, -v42
	v_fma_f32 v18, v20, v18, -v46
	v_sub_f32_e32 v16, v28, v16
	v_fmac_f32_e32 v43, v20, v15
	v_fmac_f32_e32 v47, v20, v19
	v_fma_f32 v20, v20, v30, -v48
	v_fmac_f32_e32 v31, v21, v30
	v_sub_f32_e32 v14, v12, v14
	v_dual_sub_f32 v18, v22, v18 :: v_dual_sub_f32 v15, v13, v43
	v_sub_f32_e32 v17, v29, v45
	v_dual_sub_f32 v19, v23, v47 :: v_dual_sub_f32 v20, v34, v20
	v_sub_f32_e32 v21, v35, v31
	v_fma_f32 v12, v12, 2.0, -v14
	v_fma_f32 v13, v13, 2.0, -v15
	;; [unrolled: 1-line block ×8, first 2 shown]
	ds_store_2addr_b64 v40, v[12:13], v[14:15] offset1:4
	ds_store_2addr_b64 v41, v[28:29], v[16:17] offset1:4
	;; [unrolled: 1-line block ×4, first 2 shown]
	global_wb scope:SCOPE_SE
	s_wait_dscnt 0x0
	s_barrier_signal -1
	s_barrier_wait -1
	global_inv scope:SCOPE_SE
	global_load_b64 v[20:21], v39, s[4:5] offset:48
	ds_load_2addr_stride64_b64 v[12:15], v32 offset1:7
	ds_load_2addr_b64 v[16:19], v11 offset0:48 offset1:160
	ds_load_b32 v37, v4 offset:4
	ds_load_b64 v[22:23], v9
	ds_load_b64 v[28:29], v4
	ds_load_b64 v[30:31], v32 offset:6272
	v_and_or_b32 v34, 0xf0, v8, v25
	v_and_or_b32 v35, 0x1f0, v7, v25
	v_and_b32_e32 v36, 15, v24
	v_and_or_b32 v38, 0x3f0, v6, v25
	v_and_or_b32 v25, 0x3f0, v5, v25
	v_lshl_add_u32 v40, v34, 3, 0
	v_lshl_add_u32 v41, v35, 3, 0
	ds_load_b64 v[34:35], v10
	v_lshlrev_b32_e32 v39, 3, v36
	v_lshl_add_u32 v38, v38, 3, 0
	v_lshl_add_u32 v25, v25, 3, 0
	global_wb scope:SCOPE_SE
	s_wait_loadcnt_dscnt 0x0
	s_barrier_signal -1
	s_barrier_wait -1
	global_inv scope:SCOPE_SE
	v_mul_f32_e32 v42, v21, v15
	v_mul_f32_e32 v43, v21, v14
	;; [unrolled: 1-line block ×8, first 2 shown]
	v_fma_f32 v14, v20, v14, -v42
	v_fmac_f32_e32 v43, v20, v15
	v_fma_f32 v16, v20, v16, -v44
	v_fmac_f32_e32 v45, v20, v17
	;; [unrolled: 2-line block ×4, first 2 shown]
	v_dual_sub_f32 v14, v12, v14 :: v_dual_sub_f32 v15, v13, v43
	v_dual_sub_f32 v16, v28, v16 :: v_dual_sub_f32 v17, v29, v45
	;; [unrolled: 1-line block ×3, first 2 shown]
	s_delay_alu instid0(VALU_DEP_4) | instskip(NEXT) | instid1(VALU_DEP_4)
	v_dual_sub_f32 v20, v34, v20 :: v_dual_sub_f32 v21, v35, v31
	v_fma_f32 v12, v12, 2.0, -v14
	v_fma_f32 v13, v13, 2.0, -v15
	;; [unrolled: 1-line block ×8, first 2 shown]
	ds_store_2addr_b64 v40, v[12:13], v[14:15] offset1:8
	ds_store_2addr_b64 v41, v[28:29], v[16:17] offset1:8
	;; [unrolled: 1-line block ×4, first 2 shown]
	global_wb scope:SCOPE_SE
	s_wait_dscnt 0x0
	s_barrier_signal -1
	s_barrier_wait -1
	global_inv scope:SCOPE_SE
	global_load_b64 v[20:21], v39, s[4:5] offset:112
	ds_load_2addr_stride64_b64 v[12:15], v32 offset1:7
	ds_load_2addr_b64 v[16:19], v11 offset0:48 offset1:160
	ds_load_b32 v37, v4 offset:4
	ds_load_b64 v[22:23], v9
	ds_load_b64 v[28:29], v4
	ds_load_b64 v[30:31], v32 offset:6272
	v_and_or_b32 v34, 0xe0, v8, v36
	v_and_or_b32 v35, 0x1e0, v7, v36
	v_and_b32_e32 v39, 31, v2
	v_and_b32_e32 v25, 31, v24
	v_and_or_b32 v40, 0x3e0, v6, v36
	v_lshl_add_u32 v43, v34, 3, 0
	v_lshl_add_u32 v44, v35, 3, 0
	ds_load_b64 v[34:35], v10
	v_and_or_b32 v36, 0x3e0, v5, v36
	v_and_b32_e32 v38, 31, v33
	v_lshlrev_b32_e32 v41, 3, v25
	v_lshl_add_u32 v40, v40, 3, 0
	global_wb scope:SCOPE_SE
	s_wait_loadcnt_dscnt 0x0
	v_lshl_add_u32 v36, v36, 3, 0
	v_lshlrev_b32_e32 v42, 3, v38
	s_barrier_signal -1
	s_barrier_wait -1
	global_inv scope:SCOPE_SE
	v_and_or_b32 v38, 0x1c0, v7, v38
	s_delay_alu instid0(VALU_DEP_1)
	v_lshl_add_u32 v38, v38, 3, 0
	v_mul_f32_e32 v45, v21, v15
	v_mul_f32_e32 v46, v21, v14
	;; [unrolled: 1-line block ×8, first 2 shown]
	v_fma_f32 v14, v20, v14, -v45
	v_fmac_f32_e32 v46, v20, v15
	v_fma_f32 v16, v20, v16, -v47
	v_fmac_f32_e32 v48, v20, v17
	;; [unrolled: 2-line block ×4, first 2 shown]
	v_sub_f32_e32 v14, v12, v14
	v_dual_sub_f32 v15, v13, v46 :: v_dual_sub_f32 v16, v28, v16
	v_dual_sub_f32 v17, v29, v48 :: v_dual_sub_f32 v18, v22, v18
	;; [unrolled: 1-line block ×3, first 2 shown]
	v_sub_f32_e32 v21, v35, v31
	v_fma_f32 v12, v12, 2.0, -v14
	v_fma_f32 v13, v13, 2.0, -v15
	;; [unrolled: 1-line block ×8, first 2 shown]
	ds_store_2addr_b64 v43, v[12:13], v[14:15] offset1:16
	ds_store_2addr_b64 v44, v[28:29], v[16:17] offset1:16
	;; [unrolled: 1-line block ×4, first 2 shown]
	v_lshlrev_b32_e32 v12, 3, v39
	global_wb scope:SCOPE_SE
	s_wait_dscnt 0x0
	s_barrier_signal -1
	s_barrier_wait -1
	global_inv scope:SCOPE_SE
	s_clause 0x2
	global_load_b64 v[20:21], v41, s[4:5] offset:240
	global_load_b64 v[22:23], v42, s[4:5] offset:240
	;; [unrolled: 1-line block ×3, first 2 shown]
	ds_load_2addr_stride64_b64 v[12:15], v32 offset1:7
	v_and_b32_e32 v42, 63, v3
	v_and_b32_e32 v43, 63, v2
	ds_load_2addr_b64 v[16:19], v11 offset0:48 offset1:160
	ds_load_b64 v[2:3], v9
	ds_load_b64 v[30:31], v10
	;; [unrolled: 1-line block ×3, first 2 shown]
	ds_load_b64 v[36:37], v32 offset:6272
	v_and_b32_e32 v40, 63, v24
	v_and_or_b32 v44, 0xc0, v8, v25
	v_and_or_b32 v25, 0x3c0, v6, v25
	;; [unrolled: 1-line block ×3, first 2 shown]
	v_lshlrev_b32_e32 v47, 3, v42
	v_lshlrev_b32_e32 v45, 3, v40
	v_lshl_add_u32 v44, v44, 3, 0
	v_lshl_add_u32 v25, v25, 3, 0
	;; [unrolled: 1-line block ×3, first 2 shown]
	global_wb scope:SCOPE_SE
	s_wait_loadcnt_dscnt 0x0
	s_barrier_signal -1
	s_barrier_wait -1
	global_inv scope:SCOPE_SE
	v_and_or_b32 v6, 0x380, v6, v42
	v_and_or_b32 v8, 0x80, v8, v40
	v_mul_f32_e32 v48, v21, v15
	v_dual_mul_f32 v49, v21, v14 :: v_dual_mul_f32 v50, v23, v17
	v_mul_f32_e32 v23, v23, v16
	v_mul_f32_e32 v51, v21, v19
	;; [unrolled: 1-line block ×5, first 2 shown]
	v_fma_f32 v14, v20, v14, -v48
	v_fmac_f32_e32 v49, v20, v15
	v_fma_f32 v16, v22, v16, -v50
	v_fmac_f32_e32 v23, v22, v17
	;; [unrolled: 2-line block ×4, first 2 shown]
	v_dual_sub_f32 v14, v12, v14 :: v_dual_sub_f32 v15, v13, v49
	v_dual_sub_f32 v16, v34, v16 :: v_dual_sub_f32 v17, v35, v23
	v_dual_sub_f32 v18, v2, v18 :: v_dual_and_b32 v41, 63, v33
	v_dual_sub_f32 v19, v3, v21 :: v_dual_sub_f32 v20, v30, v20
	v_sub_f32_e32 v21, v31, v29
	v_fma_f32 v12, v12, 2.0, -v14
	v_fma_f32 v13, v13, 2.0, -v15
	;; [unrolled: 1-line block ×6, first 2 shown]
	v_lshlrev_b32_e32 v46, 3, v41
	v_fma_f32 v28, v30, 2.0, -v20
	v_fma_f32 v29, v31, 2.0, -v21
	ds_store_2addr_b64 v44, v[12:13], v[14:15] offset1:32
	ds_store_2addr_b64 v38, v[22:23], v[16:17] offset1:32
	;; [unrolled: 1-line block ×4, first 2 shown]
	global_wb scope:SCOPE_SE
	s_wait_dscnt 0x0
	s_barrier_signal -1
	s_barrier_wait -1
	global_inv scope:SCOPE_SE
	global_load_b64 v[2:3], v45, s[4:5] offset:496
	v_lshlrev_b32_e32 v12, 3, v43
	s_clause 0x2
	global_load_b64 v[20:21], v46, s[4:5] offset:496
	global_load_b64 v[22:23], v47, s[4:5] offset:496
	;; [unrolled: 1-line block ×3, first 2 shown]
	ds_load_2addr_stride64_b64 v[12:15], v32 offset1:7
	ds_load_2addr_b64 v[16:19], v11 offset0:48 offset1:160
	ds_load_b64 v[30:31], v9
	ds_load_b64 v[9:10], v10
	ds_load_b64 v[34:35], v32 offset:6272
	v_and_or_b32 v11, 0x380, v5, v43
	ds_load_b64 v[4:5], v4
	v_and_or_b32 v7, 0x180, v7, v41
	v_lshl_add_u32 v37, v6, 3, 0
	v_lshl_add_u32 v25, v8, 3, 0
	;; [unrolled: 1-line block ×3, first 2 shown]
	global_wb scope:SCOPE_SE
	s_wait_loadcnt_dscnt 0x0
	v_lshl_add_u32 v36, v7, 3, 0
	s_barrier_signal -1
	s_barrier_wait -1
	global_inv scope:SCOPE_SE
	v_mul_f32_e32 v6, v3, v15
	v_mul_f32_e32 v3, v3, v14
	;; [unrolled: 1-line block ×3, first 2 shown]
	v_dual_mul_f32 v8, v21, v16 :: v_dual_mul_f32 v11, v23, v19
	v_mul_f32_e32 v21, v23, v18
	v_mul_f32_e32 v23, v29, v35
	;; [unrolled: 1-line block ×3, first 2 shown]
	v_fma_f32 v6, v2, v14, -v6
	v_fmac_f32_e32 v3, v2, v15
	v_fma_f32 v7, v20, v16, -v7
	v_fmac_f32_e32 v8, v20, v17
	v_fma_f32 v11, v22, v18, -v11
	v_fmac_f32_e32 v21, v22, v19
	v_fma_f32 v16, v28, v34, -v23
	v_fmac_f32_e32 v29, v28, v35
	v_dual_sub_f32 v2, v12, v6 :: v_dual_sub_f32 v3, v13, v3
	v_dual_sub_f32 v6, v4, v7 :: v_dual_sub_f32 v7, v5, v8
	;; [unrolled: 1-line block ×3, first 2 shown]
	s_delay_alu instid0(VALU_DEP_4) | instskip(NEXT) | instid1(VALU_DEP_4)
	v_dual_sub_f32 v28, v9, v16 :: v_dual_sub_f32 v29, v10, v29
	v_fma_f32 v11, v12, 2.0, -v2
	v_fma_f32 v12, v13, 2.0, -v3
	;; [unrolled: 1-line block ×8, first 2 shown]
	ds_store_2addr_stride64_b64 v25, v[11:12], v[2:3] offset1:1
	ds_store_2addr_stride64_b64 v36, v[4:5], v[6:7] offset1:1
	;; [unrolled: 1-line block ×4, first 2 shown]
	global_wb scope:SCOPE_SE
	s_wait_dscnt 0x0
	s_barrier_signal -1
	s_barrier_wait -1
	global_inv scope:SCOPE_SE
	ds_load_2addr_stride64_b64 v[12:15], v32 offset1:2
	ds_load_2addr_stride64_b64 v[20:23], v32 offset0:4 offset1:6
	ds_load_2addr_stride64_b64 v[16:19], v32 offset0:8 offset1:10
	ds_load_b64 v[30:31], v32 offset:6144
                                        ; implicit-def: $vgpr3
                                        ; implicit-def: $vgpr7
                                        ; implicit-def: $vgpr11
	s_and_saveexec_b32 s1, s0
	s_cbranch_execz .LBB0_15
; %bb.14:
	v_sub_nc_u32_e32 v1, 0, v1
	v_add_nc_u32_e32 v8, 0x180, v32
	s_delay_alu instid0(VALU_DEP_2)
	v_add_nc_u32_e32 v9, v0, v1
	ds_load_2addr_stride64_b64 v[0:3], v8 offset0:3 offset1:5
	ds_load_2addr_stride64_b64 v[4:7], v8 offset0:7 offset1:9
	ds_load_b64 v[28:29], v9
	ds_load_2addr_stride64_b64 v[8:11], v8 offset0:11 offset1:13
.LBB0_15:
	s_wait_alu 0xfffe
	s_or_b32 exec_lo, exec_lo, s1
	v_mul_u32_u24_e32 v25, 6, v24
	s_delay_alu instid0(VALU_DEP_1)
	v_lshlrev_b32_e32 v25, 3, v25
	s_clause 0x2
	global_load_b128 v[34:37], v25, s[4:5] offset:1008
	global_load_b128 v[38:41], v25, s[4:5] offset:1024
	;; [unrolled: 1-line block ×3, first 2 shown]
	global_wb scope:SCOPE_SE
	s_wait_loadcnt_dscnt 0x0
	s_barrier_signal -1
	s_barrier_wait -1
	global_inv scope:SCOPE_SE
	v_dual_mul_f32 v25, v35, v15 :: v_dual_mul_f32 v46, v37, v21
	v_dual_mul_f32 v35, v35, v14 :: v_dual_mul_f32 v48, v41, v17
	v_mul_f32_e32 v50, v45, v31
	s_delay_alu instid0(VALU_DEP_3)
	v_fma_f32 v14, v34, v14, -v25
	v_mul_f32_e32 v37, v37, v20
	v_mul_f32_e32 v49, v43, v19
	v_fmac_f32_e32 v35, v34, v15
	v_fma_f32 v15, v36, v20, -v46
	v_mul_f32_e32 v41, v41, v16
	v_fmac_f32_e32 v37, v36, v21
	v_fma_f32 v21, v44, v30, -v50
	v_mul_f32_e32 v47, v39, v23
	v_fma_f32 v16, v40, v16, -v48
	v_fmac_f32_e32 v41, v40, v17
	v_mul_f32_e32 v43, v43, v18
	v_fma_f32 v17, v42, v18, -v49
	v_add_f32_e32 v18, v14, v21
	v_sub_f32_e32 v14, v14, v21
	v_fma_f32 v20, v38, v22, -v47
	v_mul_f32_e32 v39, v39, v22
	v_add_f32_e32 v22, v15, v17
	v_sub_f32_e32 v15, v15, v17
	s_delay_alu instid0(VALU_DEP_4) | instskip(NEXT) | instid1(VALU_DEP_4)
	v_add_f32_e32 v25, v20, v16
	v_dual_sub_f32 v16, v16, v20 :: v_dual_fmac_f32 v39, v38, v23
	s_delay_alu instid0(VALU_DEP_1) | instskip(NEXT) | instid1(VALU_DEP_1)
	v_dual_mul_f32 v45, v45, v30 :: v_dual_add_f32 v30, v39, v41
	v_fmac_f32_e32 v45, v44, v31
	v_sub_f32_e32 v20, v41, v39
	v_fmac_f32_e32 v43, v42, v19
	v_add_f32_e32 v31, v22, v18
	v_sub_f32_e32 v39, v16, v15
	v_add_f32_e32 v19, v35, v45
	s_delay_alu instid0(VALU_DEP_4) | instskip(NEXT) | instid1(VALU_DEP_1)
	v_add_f32_e32 v23, v37, v43
	v_add_f32_e32 v34, v23, v19
	v_sub_f32_e32 v17, v37, v43
	v_dual_add_f32 v37, v16, v15 :: v_dual_sub_f32 v16, v14, v16
	v_sub_f32_e32 v21, v35, v45
	v_sub_f32_e32 v35, v22, v18
	;; [unrolled: 1-line block ×3, first 2 shown]
	v_add_f32_e32 v38, v20, v17
	v_sub_f32_e32 v40, v20, v17
	v_sub_f32_e32 v20, v21, v20
	s_delay_alu instid0(VALU_DEP_4)
	v_mul_f32_e32 v18, 0x3f4a47b2, v18
	v_sub_f32_e32 v36, v23, v19
	v_sub_f32_e32 v19, v19, v30
	;; [unrolled: 1-line block ×3, first 2 shown]
	v_dual_add_f32 v30, v30, v34 :: v_dual_sub_f32 v17, v17, v21
	v_dual_add_f32 v21, v38, v21 :: v_dual_mul_f32 v38, 0xbf08b237, v40
	s_delay_alu instid0(VALU_DEP_3) | instskip(SKIP_1) | instid1(VALU_DEP_4)
	v_mul_f32_e32 v34, 0x3d64c772, v23
	v_sub_f32_e32 v22, v25, v22
	v_mul_f32_e32 v40, 0x3f5ff5aa, v17
	s_delay_alu instid0(VALU_DEP_3) | instskip(NEXT) | instid1(VALU_DEP_2)
	v_fma_f32 v34, 0x3f3bfb3b, v36, -v34
	v_fma_f32 v40, 0xbeae86e6, v20, -v40
	v_add_f32_e32 v25, v25, v31
	v_dual_mul_f32 v31, 0x3d64c772, v22 :: v_dual_fmamk_f32 v22, v22, 0x3d64c772, v18
	v_mul_f32_e32 v19, 0x3f4a47b2, v19
	s_delay_alu instid0(VALU_DEP_4) | instskip(NEXT) | instid1(VALU_DEP_4)
	v_fmac_f32_e32 v40, 0x3ee1c552, v21
	v_add_f32_e32 v12, v25, v12
	s_delay_alu instid0(VALU_DEP_4)
	v_fma_f32 v31, 0x3f3bfb3b, v35, -v31
	v_fma_f32 v18, 0xbf3bfb3b, v35, -v18
	v_fmamk_f32 v23, v23, 0x3d64c772, v19
	v_fma_f32 v19, 0xbf3bfb3b, v36, -v19
	v_fmamk_f32 v36, v20, 0x3eae86e6, v38
	v_fma_f32 v38, 0x3f5ff5aa, v17, -v38
	v_sub_f32_e32 v15, v15, v14
	v_add_f32_e32 v14, v37, v14
	s_delay_alu instid0(VALU_DEP_4) | instskip(NEXT) | instid1(VALU_DEP_4)
	v_fmac_f32_e32 v36, 0x3ee1c552, v21
	v_fmac_f32_e32 v38, 0x3ee1c552, v21
	v_mul_f32_e32 v37, 0xbf08b237, v39
	v_mul_f32_e32 v39, 0x3f5ff5aa, v15
	s_delay_alu instid0(VALU_DEP_2) | instskip(SKIP_2) | instid1(VALU_DEP_3)
	v_fmamk_f32 v35, v16, 0x3eae86e6, v37
	v_fma_f32 v37, 0x3f5ff5aa, v15, -v37
	v_fmamk_f32 v15, v25, 0xbf955555, v12
	v_fmac_f32_e32 v35, 0x3ee1c552, v14
	s_delay_alu instid0(VALU_DEP_3) | instskip(NEXT) | instid1(VALU_DEP_3)
	v_fmac_f32_e32 v37, 0x3ee1c552, v14
	v_add_f32_e32 v25, v22, v15
	v_dual_add_f32 v13, v30, v13 :: v_dual_add_f32 v20, v31, v15
	v_add_f32_e32 v22, v18, v15
	s_delay_alu instid0(VALU_DEP_2) | instskip(SKIP_3) | instid1(VALU_DEP_2)
	v_sub_f32_e32 v18, v20, v38
	v_add_f32_e32 v20, v38, v20
	v_fma_f32 v39, 0xbeae86e6, v16, -v39
	v_fmamk_f32 v16, v30, 0xbf955555, v13
	v_dual_sub_f32 v30, v25, v36 :: v_dual_fmac_f32 v39, 0x3ee1c552, v14
	s_delay_alu instid0(VALU_DEP_2) | instskip(SKIP_2) | instid1(VALU_DEP_3)
	v_add_f32_e32 v41, v23, v16
	v_add_f32_e32 v23, v19, v16
	v_dual_add_f32 v21, v34, v16 :: v_dual_add_f32 v14, v36, v25
	v_dual_add_f32 v16, v40, v22 :: v_dual_sub_f32 v15, v41, v35
	s_delay_alu instid0(VALU_DEP_3) | instskip(NEXT) | instid1(VALU_DEP_3)
	v_sub_f32_e32 v17, v23, v39
	v_add_f32_e32 v19, v37, v21
	v_dual_sub_f32 v21, v21, v37 :: v_dual_sub_f32 v22, v22, v40
	v_add_f32_e32 v23, v39, v23
	v_add_f32_e32 v31, v35, v41
	ds_store_2addr_stride64_b64 v32, v[12:13], v[14:15] offset1:2
	ds_store_2addr_stride64_b64 v32, v[16:17], v[18:19] offset0:4 offset1:6
	ds_store_2addr_stride64_b64 v32, v[20:21], v[22:23] offset0:8 offset1:10
	ds_store_b64 v32, v[30:31] offset:6144
	s_and_saveexec_b32 s1, s0
	s_cbranch_execz .LBB0_17
; %bb.16:
	v_and_b32_e32 v12, 0x7f, v33
	s_delay_alu instid0(VALU_DEP_1) | instskip(NEXT) | instid1(VALU_DEP_1)
	v_mul_u32_u24_e32 v12, 6, v12
	v_lshlrev_b32_e32 v20, 3, v12
	s_clause 0x2
	global_load_b128 v[12:15], v20, s[4:5] offset:1008
	global_load_b128 v[16:19], v20, s[4:5] offset:1040
	;; [unrolled: 1-line block ×3, first 2 shown]
	s_wait_loadcnt 0x2
	v_dual_mul_f32 v30, v1, v13 :: v_dual_add_nc_u32 v25, 0x180, v32
	s_wait_loadcnt 0x1
	v_mul_f32_e32 v31, v11, v19
	s_wait_loadcnt 0x0
	v_dual_mul_f32 v33, v7, v23 :: v_dual_mul_f32 v34, v5, v21
	v_dual_mul_f32 v35, v3, v15 :: v_dual_mul_f32 v36, v9, v17
	v_mul_f32_e32 v19, v10, v19
	v_mul_f32_e32 v17, v8, v17
	v_fma_f32 v10, v10, v18, -v31
	s_delay_alu instid0(VALU_DEP_4) | instskip(NEXT) | instid1(VALU_DEP_4)
	v_fma_f32 v8, v8, v16, -v36
	v_fmac_f32_e32 v19, v11, v18
	v_mul_f32_e32 v21, v4, v21
	v_fma_f32 v4, v4, v20, -v34
	v_mul_f32_e32 v15, v2, v15
	v_fma_f32 v2, v2, v14, -v35
	;; [unrolled: 2-line block ×4, first 2 shown]
	v_fmac_f32_e32 v15, v3, v14
	v_fmac_f32_e32 v21, v5, v20
	v_sub_f32_e32 v5, v2, v8
	v_add_f32_e32 v2, v2, v8
	v_fmac_f32_e32 v13, v1, v12
	v_sub_f32_e32 v1, v0, v10
	v_dual_sub_f32 v3, v6, v4 :: v_dual_add_f32 v4, v4, v6
	v_add_f32_e32 v0, v0, v10
	v_fmac_f32_e32 v23, v7, v22
	s_delay_alu instid0(VALU_DEP_3) | instskip(NEXT) | instid1(VALU_DEP_4)
	v_sub_f32_e32 v18, v4, v2
	v_sub_f32_e32 v12, v1, v3
	v_fmac_f32_e32 v17, v9, v16
	s_delay_alu instid0(VALU_DEP_1) | instskip(SKIP_2) | instid1(VALU_DEP_1)
	v_sub_f32_e32 v10, v15, v17
	v_sub_f32_e32 v8, v23, v21
	;; [unrolled: 1-line block ×3, first 2 shown]
	v_dual_sub_f32 v20, v6, v8 :: v_dual_add_f32 v7, v13, v19
	v_add_f32_e32 v19, v2, v0
	v_dual_sub_f32 v2, v2, v0 :: v_dual_add_f32 v9, v21, v23
	v_sub_f32_e32 v21, v8, v10
	v_dual_add_f32 v8, v8, v10 :: v_dual_sub_f32 v13, v3, v5
	v_sub_f32_e32 v10, v10, v6
	s_delay_alu instid0(VALU_DEP_2) | instskip(SKIP_4) | instid1(VALU_DEP_3)
	v_add_f32_e32 v6, v8, v6
	v_sub_f32_e32 v14, v7, v9
	v_add_f32_e32 v11, v15, v17
	v_sub_f32_e32 v17, v0, v4
	v_add_f32_e32 v4, v4, v19
	v_sub_f32_e32 v15, v9, v11
	v_add_f32_e32 v16, v11, v7
	v_sub_f32_e32 v7, v11, v7
	v_mul_f32_e32 v11, 0xbf08b237, v13
	v_add_f32_e32 v3, v3, v5
	v_dual_sub_f32 v5, v5, v1 :: v_dual_add_f32 v0, v28, v4
	v_mul_f32_e32 v13, 0x3f4a47b2, v14
	s_delay_alu instid0(VALU_DEP_3) | instskip(NEXT) | instid1(VALU_DEP_3)
	v_dual_fmamk_f32 v22, v12, 0x3eae86e6, v11 :: v_dual_add_f32 v3, v3, v1
	v_mul_f32_e32 v8, 0x3f5ff5aa, v5
	v_mul_f32_e32 v14, 0x3d64c772, v15
	v_fmamk_f32 v4, v4, 0xbf955555, v0
	s_delay_alu instid0(VALU_DEP_3) | instskip(SKIP_1) | instid1(VALU_DEP_4)
	v_fma_f32 v12, 0xbeae86e6, v12, -v8
	v_fma_f32 v8, 0xbf3bfb3b, v7, -v13
	;; [unrolled: 1-line block ×3, first 2 shown]
	s_delay_alu instid0(VALU_DEP_3) | instskip(SKIP_1) | instid1(VALU_DEP_1)
	v_fmac_f32_e32 v12, 0x3ee1c552, v3
	v_mul_f32_e32 v19, 0xbf08b237, v21
	v_fma_f32 v14, 0x3f5ff5aa, v10, -v19
	v_dual_add_f32 v9, v9, v16 :: v_dual_mul_f32 v16, 0x3f4a47b2, v17
	v_mul_f32_e32 v17, 0x3d64c772, v18
	s_delay_alu instid0(VALU_DEP_3) | instskip(SKIP_1) | instid1(VALU_DEP_4)
	v_fmac_f32_e32 v14, 0x3ee1c552, v6
	v_fmamk_f32 v15, v15, 0x3d64c772, v13
	v_fma_f32 v13, 0xbf3bfb3b, v2, -v16
	s_delay_alu instid0(VALU_DEP_4) | instskip(SKIP_1) | instid1(VALU_DEP_2)
	v_fma_f32 v2, 0x3f3bfb3b, v2, -v17
	v_fmamk_f32 v18, v18, 0x3d64c772, v16
	v_dual_add_f32 v2, v2, v4 :: v_dual_fmamk_f32 v23, v20, 0x3eae86e6, v19
	v_fma_f32 v11, 0x3f5ff5aa, v5, -v11
	s_delay_alu instid0(VALU_DEP_2) | instskip(SKIP_2) | instid1(VALU_DEP_2)
	v_fmac_f32_e32 v23, 0x3ee1c552, v6
	v_add_f32_e32 v1, v29, v9
	v_add_f32_e32 v17, v13, v4
	v_fmamk_f32 v5, v9, 0xbf955555, v1
	s_delay_alu instid0(VALU_DEP_1) | instskip(SKIP_1) | instid1(VALU_DEP_2)
	v_dual_mul_f32 v21, 0x3f5ff5aa, v10 :: v_dual_add_f32 v10, v8, v5
	v_add_f32_e32 v8, v7, v5
	v_fma_f32 v16, 0xbeae86e6, v20, -v21
	s_delay_alu instid0(VALU_DEP_1) | instskip(SKIP_1) | instid1(VALU_DEP_2)
	v_dual_fmac_f32 v16, 0x3ee1c552, v6 :: v_dual_fmac_f32 v11, 0x3ee1c552, v3
	v_fmac_f32_e32 v22, 0x3ee1c552, v3
	v_sub_f32_e32 v7, v8, v11
	v_dual_add_f32 v9, v11, v8 :: v_dual_sub_f32 v8, v2, v14
	v_dual_add_f32 v6, v15, v5 :: v_dual_add_f32 v15, v18, v4
	v_add_f32_e32 v5, v12, v10
	v_sub_f32_e32 v11, v10, v12
	s_delay_alu instid0(VALU_DEP_3)
	v_dual_sub_f32 v13, v6, v22 :: v_dual_add_f32 v12, v23, v15
	v_add_f32_e32 v3, v22, v6
	v_add_f32_e32 v6, v14, v2
	v_sub_f32_e32 v2, v15, v23
	v_add_f32_e32 v10, v16, v17
	v_sub_f32_e32 v4, v17, v16
	ds_store_2addr_b64 v32, v[0:1], v[12:13] offset0:112 offset1:240
	ds_store_2addr_stride64_b64 v25, v[10:11], v[8:9] offset0:5 offset1:7
	ds_store_2addr_stride64_b64 v25, v[6:7], v[4:5] offset0:9 offset1:11
	ds_store_b64 v32, v[2:3] offset:7040
.LBB0_17:
	s_wait_alu 0xfffe
	s_or_b32 exec_lo, exec_lo, s1
	global_wb scope:SCOPE_SE
	s_wait_dscnt 0x0
	s_barrier_signal -1
	s_barrier_wait -1
	global_inv scope:SCOPE_SE
	s_and_saveexec_b32 s0, vcc_lo
	s_cbranch_execz .LBB0_19
; %bb.18:
	v_dual_mov_b32 v25, 0 :: v_dual_add_nc_u32 v4, 0x400, v32
	v_add_nc_u32_e32 v8, 0xc00, v32
	ds_load_2addr_b64 v[0:3], v32 offset1:112
	v_add_nc_u32_e32 v12, 0x1400, v32
	ds_load_2addr_b64 v[4:7], v4 offset0:96 offset1:208
	ds_load_2addr_b64 v[8:11], v8 offset0:64 offset1:176
	v_lshlrev_b64_e32 v[16:17], 3, v[24:25]
	v_add_co_u32 v18, vcc_lo, s8, v26
	ds_load_2addr_b64 v[12:15], v12 offset0:32 offset1:144
	s_wait_alu 0xfffd
	v_add_co_ci_u32_e32 v19, vcc_lo, s9, v27, vcc_lo
	v_add_co_u32 v16, vcc_lo, v18, v16
	s_wait_alu 0xfffd
	s_delay_alu instid0(VALU_DEP_2)
	v_add_co_ci_u32_e32 v17, vcc_lo, v19, v17, vcc_lo
	s_wait_dscnt 0x3
	s_clause 0x1
	global_store_b64 v[16:17], v[0:1], off
	global_store_b64 v[16:17], v[2:3], off offset:896
	s_wait_dscnt 0x2
	s_clause 0x1
	global_store_b64 v[16:17], v[4:5], off offset:1792
	global_store_b64 v[16:17], v[6:7], off offset:2688
	s_wait_dscnt 0x1
	s_clause 0x1
	global_store_b64 v[16:17], v[8:9], off offset:3584
	;; [unrolled: 4-line block ×3, first 2 shown]
	global_store_b64 v[16:17], v[14:15], off offset:6272
.LBB0_19:
	s_nop 0
	s_sendmsg sendmsg(MSG_DEALLOC_VGPRS)
	s_endpgm
	.section	.rodata,"a",@progbits
	.p2align	6, 0x0
	.amdhsa_kernel fft_rtc_fwd_len896_factors_2_2_2_2_2_2_2_7_wgs_112_tpt_112_sp_ip_CI_unitstride_sbrr_dirReg
		.amdhsa_group_segment_fixed_size 0
		.amdhsa_private_segment_fixed_size 0
		.amdhsa_kernarg_size 88
		.amdhsa_user_sgpr_count 2
		.amdhsa_user_sgpr_dispatch_ptr 0
		.amdhsa_user_sgpr_queue_ptr 0
		.amdhsa_user_sgpr_kernarg_segment_ptr 1
		.amdhsa_user_sgpr_dispatch_id 0
		.amdhsa_user_sgpr_private_segment_size 0
		.amdhsa_wavefront_size32 1
		.amdhsa_uses_dynamic_stack 0
		.amdhsa_enable_private_segment 0
		.amdhsa_system_sgpr_workgroup_id_x 1
		.amdhsa_system_sgpr_workgroup_id_y 0
		.amdhsa_system_sgpr_workgroup_id_z 0
		.amdhsa_system_sgpr_workgroup_info 0
		.amdhsa_system_vgpr_workitem_id 0
		.amdhsa_next_free_vgpr 53
		.amdhsa_next_free_sgpr 32
		.amdhsa_reserve_vcc 1
		.amdhsa_float_round_mode_32 0
		.amdhsa_float_round_mode_16_64 0
		.amdhsa_float_denorm_mode_32 3
		.amdhsa_float_denorm_mode_16_64 3
		.amdhsa_fp16_overflow 0
		.amdhsa_workgroup_processor_mode 1
		.amdhsa_memory_ordered 1
		.amdhsa_forward_progress 0
		.amdhsa_round_robin_scheduling 0
		.amdhsa_exception_fp_ieee_invalid_op 0
		.amdhsa_exception_fp_denorm_src 0
		.amdhsa_exception_fp_ieee_div_zero 0
		.amdhsa_exception_fp_ieee_overflow 0
		.amdhsa_exception_fp_ieee_underflow 0
		.amdhsa_exception_fp_ieee_inexact 0
		.amdhsa_exception_int_div_zero 0
	.end_amdhsa_kernel
	.text
.Lfunc_end0:
	.size	fft_rtc_fwd_len896_factors_2_2_2_2_2_2_2_7_wgs_112_tpt_112_sp_ip_CI_unitstride_sbrr_dirReg, .Lfunc_end0-fft_rtc_fwd_len896_factors_2_2_2_2_2_2_2_7_wgs_112_tpt_112_sp_ip_CI_unitstride_sbrr_dirReg
                                        ; -- End function
	.section	.AMDGPU.csdata,"",@progbits
; Kernel info:
; codeLenInByte = 6612
; NumSgprs: 34
; NumVgprs: 53
; ScratchSize: 0
; MemoryBound: 0
; FloatMode: 240
; IeeeMode: 1
; LDSByteSize: 0 bytes/workgroup (compile time only)
; SGPRBlocks: 4
; VGPRBlocks: 6
; NumSGPRsForWavesPerEU: 34
; NumVGPRsForWavesPerEU: 53
; Occupancy: 16
; WaveLimiterHint : 1
; COMPUTE_PGM_RSRC2:SCRATCH_EN: 0
; COMPUTE_PGM_RSRC2:USER_SGPR: 2
; COMPUTE_PGM_RSRC2:TRAP_HANDLER: 0
; COMPUTE_PGM_RSRC2:TGID_X_EN: 1
; COMPUTE_PGM_RSRC2:TGID_Y_EN: 0
; COMPUTE_PGM_RSRC2:TGID_Z_EN: 0
; COMPUTE_PGM_RSRC2:TIDIG_COMP_CNT: 0
	.text
	.p2alignl 7, 3214868480
	.fill 96, 4, 3214868480
	.type	__hip_cuid_72bd672c485fbc1d,@object ; @__hip_cuid_72bd672c485fbc1d
	.section	.bss,"aw",@nobits
	.globl	__hip_cuid_72bd672c485fbc1d
__hip_cuid_72bd672c485fbc1d:
	.byte	0                               ; 0x0
	.size	__hip_cuid_72bd672c485fbc1d, 1

	.ident	"AMD clang version 19.0.0git (https://github.com/RadeonOpenCompute/llvm-project roc-6.4.0 25133 c7fe45cf4b819c5991fe208aaa96edf142730f1d)"
	.section	".note.GNU-stack","",@progbits
	.addrsig
	.addrsig_sym __hip_cuid_72bd672c485fbc1d
	.amdgpu_metadata
---
amdhsa.kernels:
  - .args:
      - .actual_access:  read_only
        .address_space:  global
        .offset:         0
        .size:           8
        .value_kind:     global_buffer
      - .offset:         8
        .size:           8
        .value_kind:     by_value
      - .actual_access:  read_only
        .address_space:  global
        .offset:         16
        .size:           8
        .value_kind:     global_buffer
      - .actual_access:  read_only
        .address_space:  global
        .offset:         24
        .size:           8
        .value_kind:     global_buffer
      - .offset:         32
        .size:           8
        .value_kind:     by_value
      - .actual_access:  read_only
        .address_space:  global
        .offset:         40
        .size:           8
        .value_kind:     global_buffer
      - .actual_access:  read_only
        .address_space:  global
        .offset:         48
        .size:           8
        .value_kind:     global_buffer
      - .offset:         56
        .size:           4
        .value_kind:     by_value
      - .actual_access:  read_only
        .address_space:  global
        .offset:         64
        .size:           8
        .value_kind:     global_buffer
      - .actual_access:  read_only
        .address_space:  global
        .offset:         72
        .size:           8
        .value_kind:     global_buffer
      - .address_space:  global
        .offset:         80
        .size:           8
        .value_kind:     global_buffer
    .group_segment_fixed_size: 0
    .kernarg_segment_align: 8
    .kernarg_segment_size: 88
    .language:       OpenCL C
    .language_version:
      - 2
      - 0
    .max_flat_workgroup_size: 112
    .name:           fft_rtc_fwd_len896_factors_2_2_2_2_2_2_2_7_wgs_112_tpt_112_sp_ip_CI_unitstride_sbrr_dirReg
    .private_segment_fixed_size: 0
    .sgpr_count:     34
    .sgpr_spill_count: 0
    .symbol:         fft_rtc_fwd_len896_factors_2_2_2_2_2_2_2_7_wgs_112_tpt_112_sp_ip_CI_unitstride_sbrr_dirReg.kd
    .uniform_work_group_size: 1
    .uses_dynamic_stack: false
    .vgpr_count:     53
    .vgpr_spill_count: 0
    .wavefront_size: 32
    .workgroup_processor_mode: 1
amdhsa.target:   amdgcn-amd-amdhsa--gfx1201
amdhsa.version:
  - 1
  - 2
...

	.end_amdgpu_metadata
